;; amdgpu-corpus repo=ROCm/rocFFT kind=compiled arch=gfx1100 opt=O3
	.text
	.amdgcn_target "amdgcn-amd-amdhsa--gfx1100"
	.amdhsa_code_object_version 6
	.protected	bluestein_single_fwd_len1715_dim1_dp_op_CI_CI ; -- Begin function bluestein_single_fwd_len1715_dim1_dp_op_CI_CI
	.globl	bluestein_single_fwd_len1715_dim1_dp_op_CI_CI
	.p2align	8
	.type	bluestein_single_fwd_len1715_dim1_dp_op_CI_CI,@function
bluestein_single_fwd_len1715_dim1_dp_op_CI_CI: ; @bluestein_single_fwd_len1715_dim1_dp_op_CI_CI
; %bb.0:
	s_load_b128 s[16:19], s[0:1], 0x28
	v_mul_u32_u24_e32 v1, 0x10c, v0
	s_mov_b32 s2, exec_lo
	v_mov_b32_e32 v135, 0
	s_delay_alu instid0(VALU_DEP_2) | instskip(NEXT) | instid1(VALU_DEP_1)
	v_lshrrev_b32_e32 v1, 16, v1
	v_add_nc_u32_e32 v134, s15, v1
	s_waitcnt lgkmcnt(0)
	s_delay_alu instid0(VALU_DEP_1)
	v_cmpx_gt_u64_e64 s[16:17], v[134:135]
	s_cbranch_execz .LBB0_15
; %bb.1:
	s_clause 0x1
	s_load_b128 s[4:7], s[0:1], 0x18
	s_load_b64 s[2:3], s[0:1], 0x0
	v_mul_lo_u16 v1, 0xf5, v1
	s_delay_alu instid0(VALU_DEP_1) | instskip(NEXT) | instid1(VALU_DEP_1)
	v_sub_nc_u16 v62, v0, v1
	v_and_b32_e32 v142, 0xffff, v62
	s_waitcnt lgkmcnt(0)
	s_load_b128 s[8:11], s[4:5], 0x0
	s_waitcnt lgkmcnt(0)
	v_mad_u64_u32 v[4:5], null, s10, v134, 0
	v_mad_u64_u32 v[6:7], null, s8, v142, 0
	s_delay_alu instid0(VALU_DEP_1) | instskip(NEXT) | instid1(VALU_DEP_1)
	v_mad_u64_u32 v[10:11], null, s11, v134, v[5:6]
	v_mov_b32_e32 v5, v10
	v_lshlrev_b32_e32 v141, 4, v142
	s_delay_alu instid0(VALU_DEP_2) | instskip(NEXT) | instid1(VALU_DEP_2)
	v_lshlrev_b64 v[4:5], 4, v[4:5]
	v_add_co_u32 v132, s4, s2, v141
	s_delay_alu instid0(VALU_DEP_1) | instskip(SKIP_4) | instid1(VALU_DEP_3)
	v_add_co_ci_u32_e64 v133, null, s3, 0, s4
	global_load_b128 v[0:3], v141, s[2:3]
	v_add_co_u32 v8, vcc_lo, 0x1000, v132
	v_add_co_ci_u32_e32 v9, vcc_lo, 0, v133, vcc_lo
	v_add_co_u32 v135, vcc_lo, 0x2000, v132
	v_mad_u64_u32 v[11:12], null, s9, v142, v[7:8]
	v_add_co_ci_u32_e32 v136, vcc_lo, 0, v133, vcc_lo
	v_add_co_u32 v137, vcc_lo, 0x4000, v132
	v_add_co_ci_u32_e32 v138, vcc_lo, 0, v133, vcc_lo
	s_delay_alu instid0(VALU_DEP_4) | instskip(SKIP_2) | instid1(VALU_DEP_3)
	v_mov_b32_e32 v7, v11
	v_add_co_u32 v16, vcc_lo, 0x5000, v132
	v_add_co_ci_u32_e32 v17, vcc_lo, 0, v133, vcc_lo
	v_lshlrev_b64 v[6:7], 4, v[6:7]
	v_add_co_u32 v4, vcc_lo, s18, v4
	v_add_co_ci_u32_e32 v5, vcc_lo, s19, v5, vcc_lo
	s_mul_i32 s3, s9, 0x157
	s_mul_hi_u32 s4, s8, 0x157
	s_delay_alu instid0(VALU_DEP_2)
	v_add_co_u32 v12, vcc_lo, v4, v6
	s_mul_i32 s2, s8, 0x157
	s_add_i32 s3, s4, s3
	v_add_co_ci_u32_e32 v13, vcc_lo, v5, v7, vcc_lo
	s_lshl_b64 s[12:13], s[2:3], 4
	global_load_b128 v[4:7], v[8:9], off offset:1392
	v_add_co_u32 v14, vcc_lo, v12, s12
	v_add_co_ci_u32_e32 v15, vcc_lo, s13, v13, vcc_lo
	global_load_b128 v[8:11], v[135:136], off offset:2784
	v_add_co_u32 v18, vcc_lo, v14, s12
	v_add_co_ci_u32_e32 v19, vcc_lo, s13, v15, vcc_lo
	s_clause 0x1
	global_load_b128 v[22:25], v[12:13], off
	global_load_b128 v[26:29], v[14:15], off
	v_add_co_u32 v34, vcc_lo, v18, s12
	v_add_co_ci_u32_e32 v35, vcc_lo, s13, v19, vcc_lo
	s_delay_alu instid0(VALU_DEP_2) | instskip(NEXT) | instid1(VALU_DEP_2)
	v_add_co_u32 v20, vcc_lo, v34, s12
	v_add_co_ci_u32_e32 v21, vcc_lo, s13, v35, vcc_lo
	global_load_b128 v[30:33], v[18:19], off
	global_load_b128 v[12:15], v[137:138], off offset:80
	global_load_b128 v[34:37], v[34:35], off
	global_load_b128 v[16:19], v[16:17], off offset:1472
	global_load_b128 v[38:41], v[20:21], off
	s_load_b64 s[10:11], s[0:1], 0x38
	s_load_b128 s[4:7], s[6:7], 0x0
	v_cmp_gt_u16_e32 vcc_lo, 0x62, v62
	s_waitcnt vmcnt(6)
	v_mul_f64 v[42:43], v[24:25], v[2:3]
	v_mul_f64 v[44:45], v[22:23], v[2:3]
	s_waitcnt vmcnt(5)
	v_mul_f64 v[46:47], v[28:29], v[6:7]
	v_mul_f64 v[48:49], v[26:27], v[6:7]
	s_waitcnt vmcnt(4)
	v_mul_f64 v[50:51], v[32:33], v[10:11]
	v_mul_f64 v[52:53], v[30:31], v[10:11]
	s_waitcnt vmcnt(2)
	v_mul_f64 v[54:55], v[36:37], v[14:15]
	v_mul_f64 v[56:57], v[34:35], v[14:15]
	s_waitcnt vmcnt(0)
	v_mul_f64 v[58:59], v[40:41], v[18:19]
	v_mul_f64 v[60:61], v[38:39], v[18:19]
	v_fma_f64 v[22:23], v[22:23], v[0:1], v[42:43]
	v_fma_f64 v[24:25], v[24:25], v[0:1], -v[44:45]
	v_fma_f64 v[26:27], v[26:27], v[4:5], v[46:47]
	v_fma_f64 v[28:29], v[28:29], v[4:5], -v[48:49]
	;; [unrolled: 2-line block ×5, first 2 shown]
	ds_store_b128 v141, v[22:25]
	ds_store_b128 v141, v[26:29] offset:5488
	ds_store_b128 v141, v[30:33] offset:10976
	;; [unrolled: 1-line block ×4, first 2 shown]
	s_and_saveexec_b32 s3, vcc_lo
	s_cbranch_execz .LBB0_3
; %bb.2:
	v_mad_u64_u32 v[28:29], null, 0xffffb990, s8, v[20:21]
	s_mul_i32 s2, s9, 0xffffb990
	s_clause 0x1
	global_load_b128 v[20:23], v[132:133], off offset:3920
	global_load_b128 v[24:27], v[135:136], off offset:1216
	s_sub_i32 s2, s2, s8
	s_delay_alu instid0(SALU_CYCLE_1) | instskip(SKIP_1) | instid1(VALU_DEP_1)
	v_add_nc_u32_e32 v29, s2, v29
	v_add_co_u32 v32, s2, v28, s12
	v_add_co_ci_u32_e64 v33, s2, s13, v29, s2
	s_delay_alu instid0(VALU_DEP_2) | instskip(NEXT) | instid1(VALU_DEP_1)
	v_add_co_u32 v40, s2, v32, s12
	v_add_co_ci_u32_e64 v41, s2, s13, v33, s2
	v_add_co_u32 v42, s2, 0x3000, v132
	s_delay_alu instid0(VALU_DEP_1) | instskip(NEXT) | instid1(VALU_DEP_4)
	v_add_co_ci_u32_e64 v43, s2, 0, v133, s2
	v_add_co_u32 v44, s2, v40, s12
	s_delay_alu instid0(VALU_DEP_1) | instskip(SKIP_1) | instid1(VALU_DEP_1)
	v_add_co_ci_u32_e64 v45, s2, s13, v41, s2
	v_add_co_u32 v52, s2, 0x6000, v132
	v_add_co_ci_u32_e64 v53, s2, 0, v133, s2
	s_delay_alu instid0(VALU_DEP_4)
	v_add_co_u32 v56, s2, v44, s12
	global_load_b128 v[28:31], v[28:29], off
	global_load_b128 v[32:35], v[32:33], off
	;; [unrolled: 1-line block ×3, first 2 shown]
	v_add_co_ci_u32_e64 v57, s2, s13, v45, s2
	global_load_b128 v[40:43], v[42:43], off offset:2608
	global_load_b128 v[44:47], v[44:45], off
	s_clause 0x1
	global_load_b128 v[48:51], v[137:138], off offset:4000
	global_load_b128 v[52:55], v[52:53], off offset:1296
	global_load_b128 v[56:59], v[56:57], off
	s_waitcnt vmcnt(7)
	v_mul_f64 v[60:61], v[30:31], v[22:23]
	v_mul_f64 v[22:23], v[28:29], v[22:23]
	s_waitcnt vmcnt(6)
	v_mul_f64 v[62:63], v[34:35], v[26:27]
	v_mul_f64 v[64:65], v[32:33], v[26:27]
	;; [unrolled: 3-line block ×5, first 2 shown]
	v_fma_f64 v[26:27], v[28:29], v[20:21], v[60:61]
	v_fma_f64 v[28:29], v[30:31], v[20:21], -v[22:23]
	v_fma_f64 v[20:21], v[32:33], v[24:25], v[62:63]
	v_fma_f64 v[22:23], v[34:35], v[24:25], -v[64:65]
	;; [unrolled: 2-line block ×5, first 2 shown]
	ds_store_b128 v141, v[26:29] offset:3920
	ds_store_b128 v141, v[20:23] offset:9408
	;; [unrolled: 1-line block ×5, first 2 shown]
.LBB0_3:
	s_or_b32 exec_lo, exec_lo, s3
	s_waitcnt lgkmcnt(0)
	s_barrier
	buffer_gl0_inv
	ds_load_b128 v[56:59], v141
	ds_load_b128 v[52:55], v141 offset:5488
	ds_load_b128 v[28:31], v141 offset:10976
	;; [unrolled: 1-line block ×4, first 2 shown]
	s_load_b64 s[0:1], s[0:1], 0x8
                                        ; implicit-def: $vgpr32_vgpr33
                                        ; implicit-def: $vgpr36_vgpr37
                                        ; implicit-def: $vgpr40_vgpr41
                                        ; implicit-def: $vgpr44_vgpr45
                                        ; implicit-def: $vgpr48_vgpr49
	s_and_saveexec_b32 s2, vcc_lo
	s_cbranch_execz .LBB0_5
; %bb.4:
	ds_load_b128 v[32:35], v141 offset:3920
	ds_load_b128 v[36:39], v141 offset:9408
	;; [unrolled: 1-line block ×5, first 2 shown]
.LBB0_5:
	s_or_b32 exec_lo, exec_lo, s2
	s_waitcnt lgkmcnt(0)
	v_add_f64 v[60:61], v[28:29], v[24:25]
	v_add_f64 v[62:63], v[52:53], v[20:21]
	;; [unrolled: 1-line block ×9, first 2 shown]
	v_add_f64 v[78:79], v[54:55], -v[22:23]
	v_add_f64 v[80:81], v[30:31], -v[26:27]
	v_add_f64 v[82:83], v[58:59], v[54:55]
	v_add_f64 v[84:85], v[52:53], -v[20:21]
	v_add_f64 v[88:89], v[28:29], -v[24:25]
	s_mov_b32 s2, 0x134454ff
	s_mov_b32 s3, 0x3fee6f0e
	;; [unrolled: 1-line block ×4, first 2 shown]
	v_add_f64 v[96:97], v[24:25], -v[20:21]
	v_add_f64 v[98:99], v[54:55], -v[30:31]
	;; [unrolled: 1-line block ×13, first 2 shown]
	s_mov_b32 s13, 0xbfe2cf23
	s_barrier
	buffer_gl0_inv
	v_fma_f64 v[86:87], v[60:61], -0.5, v[56:57]
	v_fma_f64 v[90:91], v[62:63], -0.5, v[56:57]
	v_add_f64 v[60:61], v[38:39], -v[50:51]
	v_fma_f64 v[92:93], v[64:65], -0.5, v[58:59]
	v_add_f64 v[62:63], v[42:43], -v[46:47]
	;; [unrolled: 2-line block ×3, first 2 shown]
	v_fma_f64 v[56:57], v[68:69], -0.5, v[32:33]
	v_fma_f64 v[68:69], v[70:71], -0.5, v[32:33]
	v_add_f64 v[64:65], v[40:41], -v[44:45]
	v_fma_f64 v[58:59], v[72:73], -0.5, v[34:35]
	v_fma_f64 v[70:71], v[74:75], -0.5, v[34:35]
	v_add_f64 v[72:73], v[52:53], -v[28:29]
	v_add_f64 v[74:75], v[20:21], -v[24:25]
	;; [unrolled: 1-line block ×3, first 2 shown]
	v_add_f64 v[28:29], v[76:77], v[28:29]
	v_add_f64 v[30:31], v[82:83], v[30:31]
	v_add_f64 v[98:99], v[98:99], v[100:101]
	v_add_f64 v[100:101], v[54:55], v[102:103]
	v_add_f64 v[102:103], v[108:109], v[110:111]
	v_add_f64 v[54:55], v[112:113], v[114:115]
	v_fma_f64 v[76:77], v[78:79], s[2:3], v[86:87]
	v_fma_f64 v[82:83], v[78:79], s[8:9], v[86:87]
	;; [unrolled: 1-line block ×14, first 2 shown]
	s_mov_b32 s8, 0x4755a5e
	s_mov_b32 s9, 0x3fe2cf23
	;; [unrolled: 1-line block ×3, first 2 shown]
	v_add_f64 v[74:75], v[72:73], v[74:75]
	v_add_f64 v[96:97], v[52:53], v[96:97]
	;; [unrolled: 1-line block ×6, first 2 shown]
	v_fma_f64 v[28:29], v[80:81], s[8:9], v[76:77]
	v_fma_f64 v[30:31], v[80:81], s[12:13], v[82:83]
	;; [unrolled: 1-line block ×14, first 2 shown]
	s_mov_b32 s12, 0x372fe950
	s_mov_b32 s13, 0x3fd3c6ef
	v_add_f64 v[68:69], v[24:25], v[20:21]
	v_add_f64 v[70:71], v[26:27], v[22:23]
	v_fma_f64 v[72:73], v[74:75], s[12:13], v[28:29]
	v_fma_f64 v[76:77], v[74:75], s[12:13], v[30:31]
	;; [unrolled: 1-line block ×14, first 2 shown]
	v_mul_lo_u16 v88, v142, 5
	v_add_co_u32 v89, null, 0xf5, v142
	s_delay_alu instid0(VALU_DEP_2) | instskip(NEXT) | instid1(VALU_DEP_2)
	v_and_b32_e32 v88, 0xffff, v88
	v_mul_u32_u24_e32 v143, 5, v89
	s_delay_alu instid0(VALU_DEP_2)
	v_lshlrev_b32_e32 v144, 4, v88
	ds_store_b128 v144, v[68:71]
	ds_store_b128 v144, v[72:75] offset:16
	ds_store_b128 v144, v[80:83] offset:32
	;; [unrolled: 1-line block ×4, first 2 shown]
	s_and_saveexec_b32 s14, vcc_lo
	s_cbranch_execz .LBB0_7
; %bb.6:
	v_add_f64 v[34:35], v[34:35], v[38:39]
	v_add_f64 v[32:33], v[32:33], v[36:37]
	v_mul_f64 v[66:67], v[66:67], s[2:3]
	v_mul_f64 v[36:37], v[60:61], s[2:3]
	;; [unrolled: 1-line block ×4, first 2 shown]
	v_add_f64 v[34:35], v[34:35], v[42:43]
	v_add_f64 v[32:33], v[32:33], v[40:41]
	v_add_f64 v[58:59], v[58:59], -v[66:67]
	v_add_f64 v[36:37], v[56:57], v[36:37]
	v_mul_f64 v[40:41], v[52:53], s[12:13]
	v_mul_f64 v[42:43], v[54:55], s[12:13]
	v_add_f64 v[46:47], v[34:35], v[46:47]
	v_add_f64 v[32:33], v[32:33], v[44:45]
	v_add_f64 v[52:53], v[58:59], -v[60:61]
	v_add_f64 v[44:45], v[38:39], v[36:37]
	s_delay_alu instid0(VALU_DEP_4) | instskip(NEXT) | instid1(VALU_DEP_4)
	v_add_f64 v[38:39], v[46:47], v[50:51]
	v_add_f64 v[36:37], v[32:33], v[48:49]
	s_delay_alu instid0(VALU_DEP_4) | instskip(NEXT) | instid1(VALU_DEP_4)
	v_add_f64 v[34:35], v[42:43], v[52:53]
	v_add_f64 v[32:33], v[40:41], v[44:45]
	v_lshlrev_b32_e32 v40, 4, v143
	ds_store_b128 v40, v[28:31] offset:32
	ds_store_b128 v40, v[24:27] offset:48
	ds_store_b128 v40, v[36:39]
	ds_store_b128 v40, v[32:35] offset:16
	ds_store_b128 v40, v[20:23] offset:64
.LBB0_7:
	s_or_b32 exec_lo, exec_lo, s14
	v_and_b32_e32 v104, 0xff, v142
	s_waitcnt lgkmcnt(0)
	s_barrier
	buffer_gl0_inv
	s_mov_b32 s8, 0x37e14327
	v_mul_lo_u16 v32, 0xcd, v104
	s_mov_b32 s12, 0xe976ee23
	s_mov_b32 s9, 0x3fe948f6
	;; [unrolled: 1-line block ×4, first 2 shown]
	v_lshrrev_b16 v105, 10, v32
	s_mov_b32 s3, 0x3febfeb5
	s_mov_b32 s14, 0x36b3c0b5
	;; [unrolled: 1-line block ×4, first 2 shown]
	v_mul_lo_u16 v32, v105, 5
	s_mov_b32 s22, 0xb247c609
	s_mov_b32 s17, 0xbff2aaaa
	s_mov_b32 s18, 0x5476071b
	s_mov_b32 s23, 0x3fd5d0dc
	v_sub_nc_u16 v32, v142, v32
	s_mov_b32 s19, 0x3fe77f67
	s_mov_b32 s21, 0xbfe77f67
	;; [unrolled: 1-line block ×4, first 2 shown]
	v_and_b32_e32 v106, 0xff, v32
	s_mov_b32 s24, s22
	s_mov_b32 s26, 0x37c3f68c
	;; [unrolled: 1-line block ×3, first 2 shown]
	s_delay_alu instid0(VALU_DEP_1) | instskip(NEXT) | instid1(VALU_DEP_1)
	v_mul_u32_u24_e32 v32, 6, v106
	v_lshlrev_b32_e32 v44, 4, v32
	s_clause 0x5
	global_load_b128 v[36:39], v44, s[0:1]
	global_load_b128 v[32:35], v44, s[0:1] offset:16
	global_load_b128 v[40:43], v44, s[0:1] offset:80
	;; [unrolled: 1-line block ×5, first 2 shown]
	ds_load_b128 v[56:59], v141 offset:3920
	ds_load_b128 v[60:63], v141 offset:7840
	;; [unrolled: 1-line block ×6, first 2 shown]
	s_waitcnt vmcnt(5) lgkmcnt(5)
	v_mul_f64 v[80:81], v[58:59], v[38:39]
	v_mul_f64 v[82:83], v[56:57], v[38:39]
	s_waitcnt vmcnt(4) lgkmcnt(4)
	v_mul_f64 v[84:85], v[62:63], v[34:35]
	v_mul_f64 v[86:87], v[60:61], v[34:35]
	;; [unrolled: 3-line block ×6, first 2 shown]
	v_fma_f64 v[56:57], v[56:57], v[36:37], -v[80:81]
	v_fma_f64 v[58:59], v[58:59], v[36:37], v[82:83]
	v_fma_f64 v[60:61], v[60:61], v[32:33], -v[84:85]
	v_fma_f64 v[62:63], v[62:63], v[32:33], v[86:87]
	v_fma_f64 v[64:65], v[64:65], v[40:41], -v[88:89]
	v_fma_f64 v[66:67], v[66:67], v[40:41], v[90:91]
	v_fma_f64 v[68:69], v[68:69], v[52:53], -v[92:93]
	v_fma_f64 v[70:71], v[70:71], v[52:53], v[94:95]
	v_fma_f64 v[72:73], v[72:73], v[48:49], -v[96:97]
	v_fma_f64 v[74:75], v[74:75], v[48:49], v[98:99]
	v_fma_f64 v[76:77], v[76:77], v[44:45], -v[100:101]
	v_fma_f64 v[78:79], v[78:79], v[44:45], v[102:103]
	v_add_f64 v[80:81], v[56:57], v[64:65]
	v_add_f64 v[82:83], v[58:59], v[66:67]
	;; [unrolled: 1-line block ×4, first 2 shown]
	v_add_f64 v[60:61], v[60:61], -v[68:69]
	v_add_f64 v[62:63], v[62:63], -v[70:71]
	v_add_f64 v[68:69], v[72:73], v[76:77]
	v_add_f64 v[70:71], v[74:75], v[78:79]
	v_add_f64 v[72:73], v[76:77], -v[72:73]
	v_add_f64 v[74:75], v[78:79], -v[74:75]
	;; [unrolled: 1-line block ×4, first 2 shown]
	v_add_f64 v[56:57], v[84:85], v[80:81]
	v_add_f64 v[58:59], v[86:87], v[82:83]
	v_add_f64 v[76:77], v[80:81], -v[68:69]
	v_add_f64 v[78:79], v[82:83], -v[70:71]
	;; [unrolled: 1-line block ×6, first 2 shown]
	v_add_f64 v[60:61], v[72:73], v[60:61]
	v_add_f64 v[62:63], v[74:75], v[62:63]
	v_add_f64 v[72:73], v[64:65], -v[72:73]
	v_add_f64 v[74:75], v[66:67], -v[74:75]
	;; [unrolled: 1-line block ×4, first 2 shown]
	v_add_f64 v[96:97], v[68:69], v[56:57]
	v_add_f64 v[98:99], v[70:71], v[58:59]
	v_add_f64 v[68:69], v[68:69], -v[84:85]
	v_add_f64 v[70:71], v[70:71], -v[86:87]
	ds_load_b128 v[56:59], v141
	v_mul_f64 v[76:77], v[76:77], s[8:9]
	v_mul_f64 v[78:79], v[78:79], s[8:9]
	;; [unrolled: 1-line block ×6, first 2 shown]
	v_add_f64 v[60:61], v[60:61], v[64:65]
	v_add_f64 v[62:63], v[62:63], v[66:67]
	s_waitcnt lgkmcnt(0)
	s_barrier
	buffer_gl0_inv
	v_add_f64 v[56:57], v[56:57], v[96:97]
	v_add_f64 v[58:59], v[58:59], v[98:99]
	v_mul_f64 v[84:85], v[68:69], s[14:15]
	v_mul_f64 v[86:87], v[70:71], s[14:15]
	v_fma_f64 v[64:65], v[68:69], s[14:15], v[76:77]
	v_fma_f64 v[66:67], v[70:71], s[14:15], v[78:79]
	;; [unrolled: 1-line block ×4, first 2 shown]
	v_fma_f64 v[88:89], v[92:93], s[2:3], -v[88:89]
	v_fma_f64 v[90:91], v[94:95], s[2:3], -v[90:91]
	;; [unrolled: 1-line block ×6, first 2 shown]
	v_fma_f64 v[92:93], v[96:97], s[16:17], v[56:57]
	v_fma_f64 v[94:95], v[98:99], s[16:17], v[58:59]
	v_fma_f64 v[80:81], v[80:81], s[18:19], -v[84:85]
	v_fma_f64 v[82:83], v[82:83], s[18:19], -v[86:87]
	v_fma_f64 v[84:85], v[60:61], s[26:27], v[68:69]
	v_fma_f64 v[86:87], v[62:63], s[26:27], v[70:71]
	;; [unrolled: 1-line block ×6, first 2 shown]
	v_add_f64 v[100:101], v[64:65], v[92:93]
	v_add_f64 v[102:103], v[66:67], v[94:95]
	;; [unrolled: 1-line block ×7, first 2 shown]
	v_add_f64 v[62:63], v[102:103], -v[84:85]
	v_add_f64 v[64:65], v[98:99], v[76:77]
	v_add_f64 v[66:67], v[78:79], -v[96:97]
	v_add_f64 v[68:69], v[72:73], -v[90:91]
	v_add_f64 v[70:71], v[88:89], v[74:75]
	v_add_f64 v[72:73], v[90:91], v[72:73]
	v_add_f64 v[74:75], v[74:75], -v[88:89]
	v_add_f64 v[76:77], v[76:77], -v[98:99]
	v_add_f64 v[78:79], v[96:97], v[78:79]
	v_add_f64 v[82:83], v[84:85], v[102:103]
	v_mul_lo_u16 v84, 0xeb, v104
	v_add_f64 v[80:81], v[100:101], -v[86:87]
	v_and_b32_e32 v85, 0xffff, v105
	s_delay_alu instid0(VALU_DEP_3) | instskip(NEXT) | instid1(VALU_DEP_2)
	v_lshrrev_b16 v128, 13, v84
	v_mul_u32_u24_e32 v85, 35, v85
	s_delay_alu instid0(VALU_DEP_2) | instskip(NEXT) | instid1(VALU_DEP_2)
	v_mul_lo_u16 v84, v128, 35
	v_add_lshl_u32 v146, v85, v106, 4
	ds_store_b128 v146, v[56:59]
	ds_store_b128 v146, v[60:63] offset:80
	ds_store_b128 v146, v[64:67] offset:160
	;; [unrolled: 1-line block ×6, first 2 shown]
	v_sub_nc_u16 v84, v142, v84
	s_waitcnt lgkmcnt(0)
	s_barrier
	buffer_gl0_inv
	v_and_b32_e32 v129, 0xff, v84
	s_delay_alu instid0(VALU_DEP_1)
	v_mad_u64_u32 v[84:85], null, 0x60, v129, s[0:1]
	s_clause 0x5
	global_load_b128 v[60:63], v[84:85], off offset:480
	global_load_b128 v[56:59], v[84:85], off offset:496
	;; [unrolled: 1-line block ×6, first 2 shown]
	ds_load_b128 v[80:83], v141 offset:3920
	ds_load_b128 v[84:87], v141 offset:7840
	;; [unrolled: 1-line block ×6, first 2 shown]
	s_waitcnt vmcnt(5) lgkmcnt(5)
	v_mul_f64 v[104:105], v[82:83], v[62:63]
	v_mul_f64 v[106:107], v[80:81], v[62:63]
	s_waitcnt vmcnt(4) lgkmcnt(4)
	v_mul_f64 v[108:109], v[86:87], v[58:59]
	v_mul_f64 v[110:111], v[84:85], v[58:59]
	;; [unrolled: 3-line block ×6, first 2 shown]
	v_fma_f64 v[80:81], v[80:81], v[60:61], -v[104:105]
	v_fma_f64 v[82:83], v[82:83], v[60:61], v[106:107]
	v_fma_f64 v[84:85], v[84:85], v[56:57], -v[108:109]
	v_fma_f64 v[86:87], v[86:87], v[56:57], v[110:111]
	v_fma_f64 v[88:89], v[88:89], v[64:65], -v[112:113]
	v_fma_f64 v[90:91], v[90:91], v[64:65], v[114:115]
	v_fma_f64 v[92:93], v[92:93], v[76:77], -v[116:117]
	v_fma_f64 v[94:95], v[94:95], v[76:77], v[118:119]
	v_fma_f64 v[96:97], v[96:97], v[72:73], -v[120:121]
	v_fma_f64 v[98:99], v[98:99], v[72:73], v[122:123]
	v_fma_f64 v[100:101], v[100:101], v[68:69], -v[124:125]
	v_fma_f64 v[102:103], v[102:103], v[68:69], v[126:127]
	v_add_f64 v[104:105], v[80:81], v[88:89]
	v_add_f64 v[106:107], v[82:83], v[90:91]
	;; [unrolled: 1-line block ×4, first 2 shown]
	v_add_f64 v[84:85], v[84:85], -v[92:93]
	v_add_f64 v[86:87], v[86:87], -v[94:95]
	v_add_f64 v[92:93], v[96:97], v[100:101]
	v_add_f64 v[94:95], v[98:99], v[102:103]
	v_add_f64 v[96:97], v[100:101], -v[96:97]
	v_add_f64 v[98:99], v[102:103], -v[98:99]
	;; [unrolled: 1-line block ×4, first 2 shown]
	v_add_f64 v[80:81], v[108:109], v[104:105]
	v_add_f64 v[82:83], v[110:111], v[106:107]
	v_add_f64 v[100:101], v[104:105], -v[92:93]
	v_add_f64 v[102:103], v[106:107], -v[94:95]
	;; [unrolled: 1-line block ×6, first 2 shown]
	v_add_f64 v[84:85], v[96:97], v[84:85]
	v_add_f64 v[86:87], v[98:99], v[86:87]
	v_add_f64 v[96:97], v[88:89], -v[96:97]
	v_add_f64 v[98:99], v[90:91], -v[98:99]
	;; [unrolled: 1-line block ×4, first 2 shown]
	v_add_f64 v[120:121], v[92:93], v[80:81]
	v_add_f64 v[122:123], v[94:95], v[82:83]
	v_add_f64 v[92:93], v[92:93], -v[108:109]
	v_add_f64 v[94:95], v[94:95], -v[110:111]
	ds_load_b128 v[80:83], v141
	v_mul_f64 v[100:101], v[100:101], s[8:9]
	v_mul_f64 v[102:103], v[102:103], s[8:9]
	v_mul_f64 v[112:113], v[112:113], s[12:13]
	v_mul_f64 v[114:115], v[114:115], s[12:13]
	v_mul_f64 v[124:125], v[116:117], s[2:3]
	v_mul_f64 v[126:127], v[118:119], s[2:3]
	v_add_f64 v[84:85], v[84:85], v[88:89]
	v_add_f64 v[86:87], v[86:87], v[90:91]
	s_waitcnt lgkmcnt(0)
	s_barrier
	buffer_gl0_inv
	v_add_f64 v[80:81], v[80:81], v[120:121]
	v_add_f64 v[82:83], v[82:83], v[122:123]
	v_mul_f64 v[108:109], v[92:93], s[14:15]
	v_mul_f64 v[110:111], v[94:95], s[14:15]
	v_fma_f64 v[88:89], v[92:93], s[14:15], v[100:101]
	v_fma_f64 v[90:91], v[94:95], s[14:15], v[102:103]
	;; [unrolled: 1-line block ×4, first 2 shown]
	v_fma_f64 v[112:113], v[116:117], s[2:3], -v[112:113]
	v_fma_f64 v[114:115], v[118:119], s[2:3], -v[114:115]
	;; [unrolled: 1-line block ×6, first 2 shown]
	v_fma_f64 v[116:117], v[120:121], s[16:17], v[80:81]
	v_fma_f64 v[118:119], v[122:123], s[16:17], v[82:83]
	v_fma_f64 v[104:105], v[104:105], s[18:19], -v[108:109]
	v_fma_f64 v[106:107], v[106:107], s[18:19], -v[110:111]
	v_fma_f64 v[108:109], v[84:85], s[26:27], v[92:93]
	v_fma_f64 v[110:111], v[86:87], s[26:27], v[94:95]
	v_fma_f64 v[112:113], v[84:85], s[26:27], v[112:113]
	v_fma_f64 v[114:115], v[86:87], s[26:27], v[114:115]
	v_fma_f64 v[120:121], v[84:85], s[26:27], v[96:97]
	v_fma_f64 v[122:123], v[86:87], s[26:27], v[98:99]
	v_add_f64 v[124:125], v[88:89], v[116:117]
	v_add_f64 v[126:127], v[90:91], v[118:119]
	;; [unrolled: 1-line block ×7, first 2 shown]
	v_add_f64 v[86:87], v[126:127], -v[108:109]
	v_add_f64 v[88:89], v[122:123], v[100:101]
	v_add_f64 v[90:91], v[102:103], -v[120:121]
	v_add_f64 v[92:93], v[96:97], -v[114:115]
	v_add_f64 v[94:95], v[112:113], v[98:99]
	v_add_f64 v[96:97], v[114:115], v[96:97]
	v_add_f64 v[98:99], v[98:99], -v[112:113]
	v_add_f64 v[100:101], v[100:101], -v[122:123]
	v_add_f64 v[102:103], v[120:121], v[102:103]
	v_add_f64 v[104:105], v[124:125], -v[110:111]
	v_add_f64 v[106:107], v[108:109], v[126:127]
	v_and_b32_e32 v108, 0xffff, v128
	s_delay_alu instid0(VALU_DEP_1) | instskip(NEXT) | instid1(VALU_DEP_1)
	v_mul_u32_u24_e32 v108, 0xf5, v108
	v_add_lshl_u32 v145, v108, v129, 4
	v_mad_u64_u32 v[108:109], null, 0x60, v142, s[0:1]
	ds_store_b128 v145, v[80:83]
	ds_store_b128 v145, v[84:87] offset:560
	ds_store_b128 v145, v[88:91] offset:1120
	;; [unrolled: 1-line block ×6, first 2 shown]
	s_waitcnt lgkmcnt(0)
	s_barrier
	buffer_gl0_inv
	s_clause 0x5
	global_load_b128 v[84:87], v[108:109], off offset:3840
	global_load_b128 v[80:83], v[108:109], off offset:3856
	;; [unrolled: 1-line block ×6, first 2 shown]
	ds_load_b128 v[104:107], v141 offset:3920
	ds_load_b128 v[108:111], v141 offset:7840
	;; [unrolled: 1-line block ×6, first 2 shown]
	s_waitcnt vmcnt(5) lgkmcnt(5)
	v_mul_f64 v[128:129], v[106:107], v[86:87]
	v_mul_f64 v[130:131], v[104:105], v[86:87]
	s_waitcnt vmcnt(4) lgkmcnt(4)
	v_mul_f64 v[139:140], v[110:111], v[82:83]
	v_mul_f64 v[147:148], v[108:109], v[82:83]
	;; [unrolled: 3-line block ×6, first 2 shown]
	v_fma_f64 v[104:105], v[104:105], v[84:85], -v[128:129]
	v_fma_f64 v[106:107], v[106:107], v[84:85], v[130:131]
	v_fma_f64 v[108:109], v[108:109], v[80:81], -v[139:140]
	v_fma_f64 v[110:111], v[110:111], v[80:81], v[147:148]
	;; [unrolled: 2-line block ×6, first 2 shown]
	v_add_f64 v[128:129], v[104:105], v[112:113]
	v_add_f64 v[130:131], v[106:107], v[114:115]
	;; [unrolled: 1-line block ×4, first 2 shown]
	v_add_f64 v[108:109], v[108:109], -v[116:117]
	v_add_f64 v[110:111], v[110:111], -v[118:119]
	v_add_f64 v[116:117], v[120:121], v[124:125]
	v_add_f64 v[118:119], v[122:123], v[126:127]
	v_add_f64 v[120:121], v[124:125], -v[120:121]
	v_add_f64 v[122:123], v[126:127], -v[122:123]
	;; [unrolled: 1-line block ×4, first 2 shown]
	v_add_f64 v[104:105], v[139:140], v[128:129]
	v_add_f64 v[106:107], v[147:148], v[130:131]
	v_add_f64 v[112:113], v[128:129], -v[116:117]
	v_add_f64 v[114:115], v[130:131], -v[118:119]
	;; [unrolled: 1-line block ×6, first 2 shown]
	v_add_f64 v[108:109], v[120:121], v[108:109]
	v_add_f64 v[110:111], v[122:123], v[110:111]
	v_add_f64 v[120:121], v[124:125], -v[120:121]
	v_add_f64 v[122:123], v[126:127], -v[122:123]
	v_add_f64 v[157:158], v[116:117], v[104:105]
	v_add_f64 v[159:160], v[118:119], v[106:107]
	v_add_f64 v[116:117], v[116:117], -v[139:140]
	v_add_f64 v[118:119], v[118:119], -v[147:148]
	ds_load_b128 v[104:107], v141
	v_mul_f64 v[161:162], v[112:113], s[8:9]
	v_mul_f64 v[163:164], v[114:115], s[8:9]
	;; [unrolled: 1-line block ×6, first 2 shown]
	v_add_f64 v[108:109], v[108:109], v[124:125]
	v_add_f64 v[110:111], v[110:111], v[126:127]
	s_waitcnt lgkmcnt(0)
	v_add_f64 v[112:113], v[104:105], v[157:158]
	v_add_f64 v[114:115], v[106:107], v[159:160]
	v_add_f64 v[104:105], v[139:140], -v[128:129]
	v_add_f64 v[106:107], v[147:148], -v[130:131]
	v_mul_f64 v[128:129], v[116:117], s[14:15]
	v_mul_f64 v[130:131], v[118:119], s[14:15]
	v_fma_f64 v[116:117], v[116:117], s[14:15], v[161:162]
	v_fma_f64 v[118:119], v[118:119], s[14:15], v[163:164]
	;; [unrolled: 1-line block ×4, first 2 shown]
	v_fma_f64 v[139:140], v[153:154], s[2:3], -v[149:150]
	v_fma_f64 v[147:148], v[155:156], s[2:3], -v[151:152]
	;; [unrolled: 1-line block ×4, first 2 shown]
	v_fma_f64 v[149:150], v[157:158], s[16:17], v[112:113]
	v_fma_f64 v[151:152], v[159:160], s[16:17], v[114:115]
	v_fma_f64 v[153:154], v[104:105], s[20:21], -v[161:162]
	v_fma_f64 v[155:156], v[106:107], s[20:21], -v[163:164]
	;; [unrolled: 1-line block ×4, first 2 shown]
	v_fma_f64 v[157:158], v[108:109], s[26:27], v[124:125]
	v_fma_f64 v[159:160], v[110:111], s[26:27], v[126:127]
	;; [unrolled: 1-line block ×6, first 2 shown]
	v_add_f64 v[139:140], v[116:117], v[149:150]
	v_add_f64 v[147:148], v[118:119], v[151:152]
	;; [unrolled: 1-line block ×7, first 2 shown]
	v_add_f64 v[118:119], v[147:148], -v[157:158]
	v_add_f64 v[120:121], v[110:111], v[153:154]
	v_add_f64 v[122:123], v[155:156], -v[108:109]
	v_add_f64 v[124:125], v[104:105], -v[128:129]
	v_add_f64 v[126:127], v[130:131], v[106:107]
	v_add_f64 v[128:129], v[128:129], v[104:105]
	v_add_f64 v[130:131], v[106:107], -v[130:131]
	v_add_f64 v[104:105], v[153:154], -v[110:111]
	v_add_f64 v[106:107], v[108:109], v[155:156]
	v_add_f64 v[108:109], v[139:140], -v[159:160]
	v_add_f64 v[110:111], v[157:158], v[147:148]
	v_add_co_u32 v139, s0, 0x6000, v132
	s_delay_alu instid0(VALU_DEP_1) | instskip(SKIP_1) | instid1(VALU_DEP_1)
	v_add_co_ci_u32_e64 v140, s0, 0, v133, s0
	v_add_co_u32 v147, s0, 0x8000, v132
	v_add_co_ci_u32_e64 v148, s0, 0, v133, s0
	v_add_co_u32 v149, s0, 0x9000, v132
	s_delay_alu instid0(VALU_DEP_1) | instskip(SKIP_1) | instid1(VALU_DEP_1)
	v_add_co_ci_u32_e64 v150, s0, 0, v133, s0
	v_add_co_u32 v151, s0, 0xa000, v132
	v_add_co_ci_u32_e64 v152, s0, 0, v133, s0
	ds_store_b128 v141, v[112:115]
	ds_store_b128 v141, v[116:119] offset:3920
	ds_store_b128 v141, v[120:123] offset:7840
	ds_store_b128 v141, v[124:127] offset:11760
	ds_store_b128 v141, v[128:131] offset:15680
	ds_store_b128 v141, v[104:107] offset:19600
	ds_store_b128 v141, v[108:111] offset:23520
	v_add_co_u32 v128, s0, 0xc000, v132
	s_waitcnt lgkmcnt(0)
	s_barrier
	buffer_gl0_inv
	s_clause 0x1
	global_load_b128 v[112:115], v[139:140], off offset:2864
	global_load_b128 v[116:119], v[147:148], off offset:160
	v_add_co_ci_u32_e64 v129, s0, 0, v133, s0
	s_clause 0x2
	global_load_b128 v[120:123], v[149:150], off offset:1552
	global_load_b128 v[124:127], v[151:152], off offset:2944
	;; [unrolled: 1-line block ×3, first 2 shown]
	ds_load_b128 v[147:150], v141
	ds_load_b128 v[151:154], v141 offset:5488
	ds_load_b128 v[155:158], v141 offset:10976
	;; [unrolled: 1-line block ×4, first 2 shown]
	s_waitcnt vmcnt(4) lgkmcnt(4)
	v_mul_f64 v[167:168], v[149:150], v[114:115]
	v_mul_f64 v[114:115], v[147:148], v[114:115]
	s_waitcnt vmcnt(3) lgkmcnt(3)
	v_mul_f64 v[169:170], v[153:154], v[118:119]
	v_mul_f64 v[118:119], v[151:152], v[118:119]
	;; [unrolled: 3-line block ×5, first 2 shown]
	v_fma_f64 v[147:148], v[147:148], v[112:113], -v[167:168]
	v_fma_f64 v[149:150], v[149:150], v[112:113], v[114:115]
	v_fma_f64 v[112:113], v[151:152], v[116:117], -v[169:170]
	v_fma_f64 v[114:115], v[153:154], v[116:117], v[118:119]
	;; [unrolled: 2-line block ×5, first 2 shown]
	ds_store_b128 v141, v[147:150]
	ds_store_b128 v141, v[112:115] offset:5488
	ds_store_b128 v141, v[116:119] offset:10976
	;; [unrolled: 1-line block ×4, first 2 shown]
	s_and_saveexec_b32 s1, vcc_lo
	s_cbranch_execz .LBB0_9
; %bb.8:
	v_add_co_u32 v120, s0, 0x6b30, v132
	s_delay_alu instid0(VALU_DEP_1) | instskip(NEXT) | instid1(VALU_DEP_2)
	v_add_co_ci_u32_e64 v121, s0, 0, v133, s0
	v_add_co_u32 v116, s0, 0x2000, v120
	s_delay_alu instid0(VALU_DEP_1) | instskip(SKIP_1) | instid1(VALU_DEP_1)
	v_add_co_ci_u32_e64 v117, s0, 0, v121, s0
	v_add_co_u32 v122, s0, 0x3000, v120
	v_add_co_ci_u32_e64 v123, s0, 0, v121, s0
	v_add_co_u32 v124, s0, 0x4000, v120
	s_delay_alu instid0(VALU_DEP_1)
	v_add_co_ci_u32_e64 v125, s0, 0, v121, s0
	v_add_co_u32 v128, s0, 0x6000, v120
	s_clause 0x1
	global_load_b128 v[112:115], v[120:121], off offset:3920
	global_load_b128 v[116:119], v[116:117], off offset:1216
	v_add_co_ci_u32_e64 v129, s0, 0, v121, s0
	s_clause 0x2
	global_load_b128 v[120:123], v[122:123], off offset:2608
	global_load_b128 v[124:127], v[124:125], off offset:4000
	;; [unrolled: 1-line block ×3, first 2 shown]
	ds_load_b128 v[147:150], v141 offset:3920
	ds_load_b128 v[151:154], v141 offset:9408
	;; [unrolled: 1-line block ×5, first 2 shown]
	s_waitcnt vmcnt(4) lgkmcnt(4)
	v_mul_f64 v[167:168], v[149:150], v[114:115]
	v_mul_f64 v[114:115], v[147:148], v[114:115]
	s_waitcnt vmcnt(3) lgkmcnt(3)
	v_mul_f64 v[169:170], v[153:154], v[118:119]
	v_mul_f64 v[118:119], v[151:152], v[118:119]
	;; [unrolled: 3-line block ×5, first 2 shown]
	v_fma_f64 v[147:148], v[147:148], v[112:113], -v[167:168]
	v_fma_f64 v[149:150], v[149:150], v[112:113], v[114:115]
	v_fma_f64 v[112:113], v[151:152], v[116:117], -v[169:170]
	v_fma_f64 v[114:115], v[153:154], v[116:117], v[118:119]
	;; [unrolled: 2-line block ×5, first 2 shown]
	ds_store_b128 v141, v[147:150] offset:3920
	ds_store_b128 v141, v[112:115] offset:9408
	;; [unrolled: 1-line block ×5, first 2 shown]
.LBB0_9:
	s_or_b32 exec_lo, exec_lo, s1
	s_waitcnt lgkmcnt(0)
	s_barrier
	buffer_gl0_inv
	ds_load_b128 v[128:131], v141
	ds_load_b128 v[124:127], v141 offset:5488
	ds_load_b128 v[120:123], v141 offset:10976
	;; [unrolled: 1-line block ×4, first 2 shown]
	s_and_saveexec_b32 s0, vcc_lo
	s_cbranch_execz .LBB0_11
; %bb.10:
	ds_load_b128 v[104:107], v141 offset:3920
	ds_load_b128 v[108:111], v141 offset:9408
	;; [unrolled: 1-line block ×5, first 2 shown]
.LBB0_11:
	s_or_b32 exec_lo, exec_lo, s0
	s_waitcnt lgkmcnt(1)
	v_add_f64 v[147:148], v[120:121], v[116:117]
	v_add_f64 v[151:152], v[122:123], v[118:119]
	s_waitcnt lgkmcnt(0)
	v_add_f64 v[149:150], v[124:125], v[112:113]
	v_add_f64 v[153:154], v[126:127], v[114:115]
	;; [unrolled: 1-line block ×4, first 2 shown]
	v_add_f64 v[157:158], v[126:127], -v[114:115]
	v_add_f64 v[163:164], v[124:125], -v[112:113]
	v_add_f64 v[159:160], v[122:123], -v[118:119]
	s_mov_b32 s0, 0x134454ff
	s_mov_b32 s1, 0xbfee6f0e
	;; [unrolled: 1-line block ×4, first 2 shown]
	v_add_f64 v[169:170], v[126:127], -v[122:123]
	v_add_f64 v[126:127], v[122:123], -v[126:127]
	v_add_f64 v[165:166], v[112:113], -v[116:117]
	v_add_f64 v[167:168], v[116:117], -v[112:113]
	v_add_f64 v[171:172], v[114:115], -v[118:119]
	v_add_f64 v[173:174], v[118:119], -v[114:115]
	s_mov_b32 s12, 0x4755a5e
	s_mov_b32 s13, 0xbfe2cf23
	;; [unrolled: 1-line block ×6, first 2 shown]
	s_barrier
	buffer_gl0_inv
	v_fma_f64 v[147:148], v[147:148], -0.5, v[128:129]
	v_fma_f64 v[151:152], v[151:152], -0.5, v[130:131]
	;; [unrolled: 1-line block ×3, first 2 shown]
	v_add_f64 v[149:150], v[120:121], -v[116:117]
	v_fma_f64 v[130:131], v[153:154], -0.5, v[130:131]
	v_add_f64 v[153:154], v[124:125], -v[120:121]
	v_add_f64 v[124:125], v[120:121], -v[124:125]
	v_add_f64 v[120:121], v[155:156], v[120:121]
	v_add_f64 v[122:123], v[161:162], v[122:123]
	v_fma_f64 v[155:156], v[157:158], s[0:1], v[147:148]
	v_fma_f64 v[147:148], v[157:158], s[2:3], v[147:148]
	;; [unrolled: 1-line block ×8, first 2 shown]
	v_add_f64 v[116:117], v[120:121], v[116:117]
	v_add_f64 v[118:119], v[122:123], v[118:119]
	;; [unrolled: 1-line block ×6, first 2 shown]
	v_fma_f64 v[120:121], v[159:160], s[12:13], v[155:156]
	v_fma_f64 v[122:123], v[159:160], s[8:9], v[147:148]
	;; [unrolled: 1-line block ×8, first 2 shown]
	v_add_f64 v[112:113], v[116:117], v[112:113]
	v_add_f64 v[114:115], v[118:119], v[114:115]
	v_fma_f64 v[116:117], v[153:154], s[14:15], v[120:121]
	v_fma_f64 v[120:121], v[153:154], s[14:15], v[122:123]
	v_fma_f64 v[118:119], v[167:168], s[14:15], v[147:148]
	v_fma_f64 v[124:125], v[165:166], s[14:15], v[124:125]
	v_fma_f64 v[128:129], v[165:166], s[14:15], v[126:127]
	v_fma_f64 v[126:127], v[169:170], s[14:15], v[155:156]
	v_fma_f64 v[130:131], v[169:170], s[14:15], v[130:131]
	v_fma_f64 v[122:123], v[167:168], s[14:15], v[149:150]
	ds_store_b128 v144, v[112:115]
	ds_store_b128 v144, v[116:119] offset:16
	ds_store_b128 v144, v[124:127] offset:32
	;; [unrolled: 1-line block ×4, first 2 shown]
	s_and_saveexec_b32 s16, vcc_lo
	s_cbranch_execz .LBB0_13
; %bb.12:
	v_add_f64 v[112:113], v[110:111], v[22:23]
	v_add_f64 v[114:115], v[30:31], v[26:27]
	;; [unrolled: 1-line block ×6, first 2 shown]
	v_add_f64 v[120:121], v[28:29], -v[24:25]
	v_add_f64 v[122:123], v[108:109], -v[20:21]
	;; [unrolled: 1-line block ×9, first 2 shown]
	v_fma_f64 v[112:113], v[112:113], -0.5, v[106:107]
	v_fma_f64 v[106:107], v[114:115], -0.5, v[106:107]
	;; [unrolled: 1-line block ×3, first 2 shown]
	v_add_f64 v[114:115], v[30:31], -v[26:27]
	v_fma_f64 v[104:105], v[118:119], -0.5, v[104:105]
	v_add_f64 v[118:119], v[30:31], -v[110:111]
	v_add_f64 v[110:111], v[110:111], -v[30:31]
	v_add_f64 v[30:31], v[124:125], v[30:31]
	v_add_f64 v[28:29], v[126:127], v[28:29]
	v_fma_f64 v[124:125], v[120:121], s[2:3], v[112:113]
	v_fma_f64 v[112:113], v[120:121], s[0:1], v[112:113]
	;; [unrolled: 1-line block ×8, first 2 shown]
	v_add_f64 v[26:27], v[30:31], v[26:27]
	v_add_f64 v[24:25], v[28:29], v[24:25]
	v_add_f64 v[110:111], v[110:111], v[147:148]
	v_add_f64 v[147:148], v[108:109], v[153:154]
	v_add_f64 v[118:119], v[118:119], v[130:131]
	v_add_f64 v[130:131], v[149:150], v[151:152]
	v_fma_f64 v[28:29], v[122:123], s[12:13], v[124:125]
	v_fma_f64 v[30:31], v[122:123], s[8:9], v[112:113]
	;; [unrolled: 1-line block ×8, first 2 shown]
	v_add_f64 v[22:23], v[26:27], v[22:23]
	v_add_f64 v[20:21], v[24:25], v[20:21]
	v_fma_f64 v[26:27], v[118:119], s[14:15], v[28:29]
	v_fma_f64 v[30:31], v[118:119], s[14:15], v[30:31]
	;; [unrolled: 1-line block ×8, first 2 shown]
	v_lshlrev_b32_e32 v112, 4, v143
	ds_store_b128 v112, v[20:23]
	ds_store_b128 v112, v[108:111] offset:16
	ds_store_b128 v112, v[28:31] offset:32
	;; [unrolled: 1-line block ×4, first 2 shown]
.LBB0_13:
	s_or_b32 exec_lo, exec_lo, s16
	s_waitcnt lgkmcnt(0)
	s_barrier
	buffer_gl0_inv
	ds_load_b128 v[20:23], v141 offset:3920
	ds_load_b128 v[24:27], v141 offset:7840
	;; [unrolled: 1-line block ×6, first 2 shown]
	s_mov_b32 s2, 0x37e14327
	s_mov_b32 s8, 0xe976ee23
	;; [unrolled: 1-line block ×14, first 2 shown]
	s_waitcnt lgkmcnt(5)
	v_mul_f64 v[116:117], v[38:39], v[22:23]
	v_mul_f64 v[38:39], v[38:39], v[20:21]
	s_waitcnt lgkmcnt(4)
	v_mul_f64 v[118:119], v[34:35], v[26:27]
	v_mul_f64 v[34:35], v[34:35], v[24:25]
	;; [unrolled: 3-line block ×6, first 2 shown]
	s_mov_b32 s19, 0xbfe77f67
	s_mov_b32 s23, 0x3fd5d0dc
	;; [unrolled: 1-line block ×6, first 2 shown]
	v_fma_f64 v[20:21], v[36:37], v[20:21], v[116:117]
	v_fma_f64 v[22:23], v[36:37], v[22:23], -v[38:39]
	v_fma_f64 v[24:25], v[32:33], v[24:25], v[118:119]
	v_fma_f64 v[26:27], v[32:33], v[26:27], -v[34:35]
	;; [unrolled: 2-line block ×6, first 2 shown]
	v_add_f64 v[44:45], v[20:21], v[28:29]
	v_add_f64 v[46:47], v[22:23], v[30:31]
	;; [unrolled: 1-line block ×4, first 2 shown]
	v_add_f64 v[24:25], v[24:25], -v[32:33]
	v_add_f64 v[26:27], v[26:27], -v[34:35]
	v_add_f64 v[32:33], v[36:37], v[40:41]
	v_add_f64 v[34:35], v[38:39], v[42:43]
	v_add_f64 v[36:37], v[40:41], -v[36:37]
	v_add_f64 v[38:39], v[42:43], -v[38:39]
	;; [unrolled: 1-line block ×4, first 2 shown]
	v_add_f64 v[20:21], v[48:49], v[44:45]
	v_add_f64 v[22:23], v[50:51], v[46:47]
	v_add_f64 v[40:41], v[44:45], -v[32:33]
	v_add_f64 v[42:43], v[46:47], -v[34:35]
	;; [unrolled: 1-line block ×6, first 2 shown]
	v_add_f64 v[24:25], v[36:37], v[24:25]
	v_add_f64 v[26:27], v[38:39], v[26:27]
	v_add_f64 v[36:37], v[28:29], -v[36:37]
	v_add_f64 v[38:39], v[30:31], -v[38:39]
	;; [unrolled: 1-line block ×4, first 2 shown]
	v_add_f64 v[108:109], v[32:33], v[20:21]
	v_add_f64 v[110:111], v[34:35], v[22:23]
	v_add_f64 v[32:33], v[32:33], -v[48:49]
	v_add_f64 v[34:35], v[34:35], -v[50:51]
	ds_load_b128 v[20:23], v141
	v_mul_f64 v[40:41], v[40:41], s[2:3]
	v_mul_f64 v[42:43], v[42:43], s[2:3]
	v_mul_f64 v[52:53], v[52:53], s[8:9]
	v_mul_f64 v[54:55], v[54:55], s[8:9]
	v_mul_f64 v[112:113], v[104:105], s[0:1]
	v_mul_f64 v[114:115], v[106:107], s[0:1]
	v_add_f64 v[24:25], v[24:25], v[28:29]
	v_add_f64 v[26:27], v[26:27], v[30:31]
	s_waitcnt lgkmcnt(0)
	s_barrier
	buffer_gl0_inv
	v_add_f64 v[20:21], v[20:21], v[108:109]
	v_add_f64 v[22:23], v[22:23], v[110:111]
	v_mul_f64 v[48:49], v[32:33], s[12:13]
	v_mul_f64 v[50:51], v[34:35], s[12:13]
	v_fma_f64 v[28:29], v[32:33], s[12:13], v[40:41]
	v_fma_f64 v[30:31], v[34:35], s[12:13], v[42:43]
	;; [unrolled: 1-line block ×4, first 2 shown]
	v_fma_f64 v[52:53], v[104:105], s[0:1], -v[52:53]
	v_fma_f64 v[54:55], v[106:107], s[0:1], -v[54:55]
	;; [unrolled: 1-line block ×6, first 2 shown]
	v_fma_f64 v[104:105], v[108:109], s[14:15], v[20:21]
	v_fma_f64 v[106:107], v[110:111], s[14:15], v[22:23]
	v_fma_f64 v[44:45], v[44:45], s[16:17], -v[48:49]
	v_fma_f64 v[46:47], v[46:47], s[16:17], -v[50:51]
	v_fma_f64 v[48:49], v[24:25], s[24:25], v[32:33]
	v_fma_f64 v[50:51], v[26:27], s[24:25], v[34:35]
	;; [unrolled: 1-line block ×6, first 2 shown]
	v_add_f64 v[112:113], v[28:29], v[104:105]
	v_add_f64 v[114:115], v[30:31], v[106:107]
	;; [unrolled: 1-line block ×7, first 2 shown]
	v_add_f64 v[26:27], v[114:115], -v[48:49]
	v_add_f64 v[28:29], v[110:111], v[40:41]
	v_add_f64 v[30:31], v[42:43], -v[108:109]
	v_add_f64 v[32:33], v[36:37], -v[54:55]
	v_add_f64 v[34:35], v[52:53], v[38:39]
	v_add_f64 v[36:37], v[54:55], v[36:37]
	v_add_f64 v[38:39], v[38:39], -v[52:53]
	v_add_f64 v[40:41], v[40:41], -v[110:111]
	v_add_f64 v[42:43], v[108:109], v[42:43]
	v_add_f64 v[44:45], v[112:113], -v[50:51]
	v_add_f64 v[46:47], v[48:49], v[114:115]
	ds_store_b128 v146, v[20:23]
	ds_store_b128 v146, v[24:27] offset:80
	ds_store_b128 v146, v[28:31] offset:160
	;; [unrolled: 1-line block ×6, first 2 shown]
	s_waitcnt lgkmcnt(0)
	s_barrier
	buffer_gl0_inv
	ds_load_b128 v[20:23], v141 offset:3920
	ds_load_b128 v[24:27], v141 offset:7840
	;; [unrolled: 1-line block ×6, first 2 shown]
	s_waitcnt lgkmcnt(5)
	v_mul_f64 v[44:45], v[62:63], v[22:23]
	v_mul_f64 v[46:47], v[62:63], v[20:21]
	s_waitcnt lgkmcnt(4)
	v_mul_f64 v[48:49], v[58:59], v[26:27]
	v_mul_f64 v[50:51], v[58:59], v[24:25]
	;; [unrolled: 3-line block ×6, first 2 shown]
	v_fma_f64 v[20:21], v[60:61], v[20:21], v[44:45]
	v_fma_f64 v[22:23], v[60:61], v[22:23], -v[46:47]
	v_fma_f64 v[24:25], v[56:57], v[24:25], v[48:49]
	v_fma_f64 v[26:27], v[56:57], v[26:27], -v[50:51]
	;; [unrolled: 2-line block ×6, first 2 shown]
	v_add_f64 v[44:45], v[20:21], v[28:29]
	v_add_f64 v[46:47], v[22:23], v[30:31]
	;; [unrolled: 1-line block ×4, first 2 shown]
	v_add_f64 v[24:25], v[24:25], -v[32:33]
	v_add_f64 v[26:27], v[26:27], -v[34:35]
	v_add_f64 v[32:33], v[36:37], v[40:41]
	v_add_f64 v[34:35], v[38:39], v[42:43]
	v_add_f64 v[36:37], v[40:41], -v[36:37]
	v_add_f64 v[38:39], v[42:43], -v[38:39]
	;; [unrolled: 1-line block ×4, first 2 shown]
	v_add_f64 v[20:21], v[48:49], v[44:45]
	v_add_f64 v[22:23], v[50:51], v[46:47]
	v_add_f64 v[40:41], v[44:45], -v[32:33]
	v_add_f64 v[42:43], v[46:47], -v[34:35]
	v_add_f64 v[52:53], v[36:37], -v[24:25]
	v_add_f64 v[54:55], v[38:39], -v[26:27]
	v_add_f64 v[56:57], v[24:25], -v[28:29]
	v_add_f64 v[58:59], v[26:27], -v[30:31]
	v_add_f64 v[24:25], v[36:37], v[24:25]
	v_add_f64 v[26:27], v[38:39], v[26:27]
	v_add_f64 v[36:37], v[28:29], -v[36:37]
	v_add_f64 v[38:39], v[30:31], -v[38:39]
	;; [unrolled: 1-line block ×4, first 2 shown]
	v_add_f64 v[60:61], v[32:33], v[20:21]
	v_add_f64 v[62:63], v[34:35], v[22:23]
	v_add_f64 v[32:33], v[32:33], -v[48:49]
	v_add_f64 v[34:35], v[34:35], -v[50:51]
	ds_load_b128 v[20:23], v141
	v_mul_f64 v[40:41], v[40:41], s[2:3]
	v_mul_f64 v[42:43], v[42:43], s[2:3]
	;; [unrolled: 1-line block ×6, first 2 shown]
	v_add_f64 v[24:25], v[24:25], v[28:29]
	v_add_f64 v[26:27], v[26:27], v[30:31]
	s_waitcnt lgkmcnt(0)
	s_barrier
	buffer_gl0_inv
	v_add_f64 v[20:21], v[20:21], v[60:61]
	v_add_f64 v[22:23], v[22:23], v[62:63]
	v_mul_f64 v[48:49], v[32:33], s[12:13]
	v_mul_f64 v[50:51], v[34:35], s[12:13]
	v_fma_f64 v[28:29], v[32:33], s[12:13], v[40:41]
	v_fma_f64 v[30:31], v[34:35], s[12:13], v[42:43]
	;; [unrolled: 1-line block ×4, first 2 shown]
	v_fma_f64 v[52:53], v[56:57], s[0:1], -v[52:53]
	v_fma_f64 v[54:55], v[58:59], s[0:1], -v[54:55]
	;; [unrolled: 1-line block ×6, first 2 shown]
	v_fma_f64 v[56:57], v[60:61], s[14:15], v[20:21]
	v_fma_f64 v[58:59], v[62:63], s[14:15], v[22:23]
	v_fma_f64 v[44:45], v[44:45], s[16:17], -v[48:49]
	v_fma_f64 v[46:47], v[46:47], s[16:17], -v[50:51]
	v_fma_f64 v[48:49], v[24:25], s[24:25], v[32:33]
	v_fma_f64 v[50:51], v[26:27], s[24:25], v[34:35]
	;; [unrolled: 1-line block ×6, first 2 shown]
	v_add_f64 v[64:65], v[28:29], v[56:57]
	v_add_f64 v[66:67], v[30:31], v[58:59]
	;; [unrolled: 1-line block ×7, first 2 shown]
	v_add_f64 v[26:27], v[66:67], -v[48:49]
	v_add_f64 v[28:29], v[62:63], v[40:41]
	v_add_f64 v[30:31], v[42:43], -v[60:61]
	v_add_f64 v[32:33], v[36:37], -v[54:55]
	v_add_f64 v[34:35], v[52:53], v[38:39]
	v_add_f64 v[36:37], v[54:55], v[36:37]
	v_add_f64 v[38:39], v[38:39], -v[52:53]
	v_add_f64 v[40:41], v[40:41], -v[62:63]
	v_add_f64 v[42:43], v[60:61], v[42:43]
	v_add_f64 v[44:45], v[64:65], -v[50:51]
	v_add_f64 v[46:47], v[48:49], v[66:67]
	ds_store_b128 v145, v[20:23]
	ds_store_b128 v145, v[24:27] offset:560
	ds_store_b128 v145, v[28:31] offset:1120
	;; [unrolled: 1-line block ×6, first 2 shown]
	s_waitcnt lgkmcnt(0)
	s_barrier
	buffer_gl0_inv
	ds_load_b128 v[20:23], v141 offset:3920
	ds_load_b128 v[24:27], v141 offset:7840
	;; [unrolled: 1-line block ×6, first 2 shown]
	s_waitcnt lgkmcnt(5)
	v_mul_f64 v[44:45], v[86:87], v[22:23]
	v_mul_f64 v[46:47], v[86:87], v[20:21]
	s_waitcnt lgkmcnt(4)
	v_mul_f64 v[48:49], v[82:83], v[26:27]
	v_mul_f64 v[50:51], v[82:83], v[24:25]
	;; [unrolled: 3-line block ×6, first 2 shown]
	v_fma_f64 v[20:21], v[84:85], v[20:21], v[44:45]
	v_fma_f64 v[22:23], v[84:85], v[22:23], -v[46:47]
	v_fma_f64 v[24:25], v[80:81], v[24:25], v[48:49]
	v_fma_f64 v[26:27], v[80:81], v[26:27], -v[50:51]
	;; [unrolled: 2-line block ×6, first 2 shown]
	v_add_f64 v[44:45], v[20:21], v[28:29]
	v_add_f64 v[46:47], v[22:23], v[30:31]
	;; [unrolled: 1-line block ×4, first 2 shown]
	v_add_f64 v[24:25], v[24:25], -v[32:33]
	v_add_f64 v[26:27], v[26:27], -v[34:35]
	v_add_f64 v[32:33], v[36:37], v[40:41]
	v_add_f64 v[34:35], v[38:39], v[42:43]
	v_add_f64 v[36:37], v[40:41], -v[36:37]
	v_add_f64 v[38:39], v[42:43], -v[38:39]
	;; [unrolled: 1-line block ×4, first 2 shown]
	v_add_f64 v[20:21], v[48:49], v[44:45]
	v_add_f64 v[22:23], v[50:51], v[46:47]
	v_add_f64 v[40:41], v[44:45], -v[32:33]
	v_add_f64 v[42:43], v[46:47], -v[34:35]
	;; [unrolled: 1-line block ×6, first 2 shown]
	v_add_f64 v[24:25], v[36:37], v[24:25]
	v_add_f64 v[26:27], v[38:39], v[26:27]
	v_add_f64 v[36:37], v[28:29], -v[36:37]
	v_add_f64 v[38:39], v[30:31], -v[38:39]
	;; [unrolled: 1-line block ×4, first 2 shown]
	v_add_f64 v[60:61], v[32:33], v[20:21]
	v_add_f64 v[62:63], v[34:35], v[22:23]
	v_add_f64 v[32:33], v[32:33], -v[48:49]
	v_add_f64 v[34:35], v[34:35], -v[50:51]
	ds_load_b128 v[20:23], v141
	v_mul_f64 v[40:41], v[40:41], s[2:3]
	v_mul_f64 v[42:43], v[42:43], s[2:3]
	;; [unrolled: 1-line block ×6, first 2 shown]
	v_add_f64 v[24:25], v[24:25], v[28:29]
	v_add_f64 v[26:27], v[26:27], v[30:31]
	s_mov_b32 s2, 0xde1d8e4
	s_mov_b32 s3, 0x3f431b51
	s_waitcnt lgkmcnt(0)
	v_add_f64 v[20:21], v[20:21], v[60:61]
	v_add_f64 v[22:23], v[22:23], v[62:63]
	v_mul_f64 v[48:49], v[32:33], s[12:13]
	v_mul_f64 v[50:51], v[34:35], s[12:13]
	v_fma_f64 v[28:29], v[32:33], s[12:13], v[40:41]
	v_fma_f64 v[30:31], v[34:35], s[12:13], v[42:43]
	v_fma_f64 v[32:33], v[36:37], s[20:21], v[52:53]
	v_fma_f64 v[34:35], v[38:39], s[20:21], v[54:55]
	v_fma_f64 v[52:53], v[56:57], s[0:1], -v[52:53]
	v_fma_f64 v[54:55], v[58:59], s[0:1], -v[54:55]
	;; [unrolled: 1-line block ×6, first 2 shown]
	s_mul_i32 s1, s5, 0x157
	v_fma_f64 v[56:57], v[60:61], s[14:15], v[20:21]
	v_fma_f64 v[58:59], v[62:63], s[14:15], v[22:23]
	v_fma_f64 v[44:45], v[44:45], s[16:17], -v[48:49]
	v_fma_f64 v[46:47], v[46:47], s[16:17], -v[50:51]
	v_fma_f64 v[48:49], v[24:25], s[24:25], v[32:33]
	v_fma_f64 v[50:51], v[26:27], s[24:25], v[34:35]
	;; [unrolled: 1-line block ×6, first 2 shown]
	v_add_f64 v[64:65], v[28:29], v[56:57]
	v_add_f64 v[66:67], v[30:31], v[58:59]
	;; [unrolled: 1-line block ×7, first 2 shown]
	v_add_f64 v[26:27], v[66:67], -v[48:49]
	v_add_f64 v[28:29], v[62:63], v[40:41]
	v_add_f64 v[30:31], v[42:43], -v[60:61]
	v_add_f64 v[32:33], v[36:37], -v[54:55]
	v_add_f64 v[34:35], v[52:53], v[38:39]
	v_add_f64 v[36:37], v[54:55], v[36:37]
	v_add_f64 v[38:39], v[38:39], -v[52:53]
	v_add_f64 v[40:41], v[40:41], -v[62:63]
	v_add_f64 v[42:43], v[60:61], v[42:43]
	v_add_f64 v[44:45], v[64:65], -v[50:51]
	v_add_f64 v[46:47], v[48:49], v[66:67]
	ds_store_b128 v141, v[20:23]
	ds_store_b128 v141, v[24:27] offset:3920
	ds_store_b128 v141, v[28:31] offset:7840
	;; [unrolled: 1-line block ×6, first 2 shown]
	s_waitcnt lgkmcnt(0)
	s_barrier
	buffer_gl0_inv
	ds_load_b128 v[20:23], v141
	ds_load_b128 v[24:27], v141 offset:5488
	ds_load_b128 v[28:31], v141 offset:10976
	;; [unrolled: 1-line block ×4, first 2 shown]
	s_waitcnt lgkmcnt(4)
	v_mul_f64 v[40:41], v[2:3], v[22:23]
	v_mul_f64 v[2:3], v[2:3], v[20:21]
	s_waitcnt lgkmcnt(3)
	v_mul_f64 v[42:43], v[6:7], v[26:27]
	v_mul_f64 v[6:7], v[6:7], v[24:25]
	;; [unrolled: 3-line block ×5, first 2 shown]
	v_fma_f64 v[20:21], v[0:1], v[20:21], v[40:41]
	v_fma_f64 v[0:1], v[0:1], v[22:23], -v[2:3]
	v_fma_f64 v[22:23], v[4:5], v[24:25], v[42:43]
	v_fma_f64 v[24:25], v[4:5], v[26:27], -v[6:7]
	;; [unrolled: 2-line block ×5, first 2 shown]
	v_mad_u64_u32 v[38:39], null, s4, v142, 0
	v_mad_u64_u32 v[2:3], null, s6, v134, 0
	s_mul_i32 s6, s4, 0x157
	s_delay_alu instid0(VALU_DEP_2) | instskip(NEXT) | instid1(VALU_DEP_1)
	v_mov_b32_e32 v4, v39
	v_mad_u64_u32 v[5:6], null, s7, v134, v[3:4]
	s_mul_hi_u32 s7, s4, 0x157
	s_delay_alu instid0(SALU_CYCLE_1) | instskip(NEXT) | instid1(SALU_CYCLE_1)
	s_add_i32 s7, s7, s1
	s_lshl_b64 s[6:7], s[6:7], 4
	s_delay_alu instid0(VALU_DEP_1) | instskip(SKIP_1) | instid1(VALU_DEP_2)
	v_mov_b32_e32 v3, v5
	v_mad_u64_u32 v[6:7], null, s5, v142, v[4:5]
	v_lshlrev_b64 v[40:41], 4, v[2:3]
	v_mul_f64 v[2:3], v[20:21], s[2:3]
	v_mul_f64 v[4:5], v[0:1], s[2:3]
	s_delay_alu instid0(VALU_DEP_4)
	v_mov_b32_e32 v39, v6
	v_mul_f64 v[6:7], v[22:23], s[2:3]
	v_mul_f64 v[8:9], v[24:25], s[2:3]
	;; [unrolled: 1-line block ×8, first 2 shown]
	v_lshlrev_b64 v[0:1], 4, v[38:39]
	v_add_co_u32 v22, s0, s10, v40
	s_delay_alu instid0(VALU_DEP_1) | instskip(NEXT) | instid1(VALU_DEP_2)
	v_add_co_ci_u32_e64 v23, s0, s11, v41, s0
	v_add_co_u32 v22, s0, v22, v0
	s_delay_alu instid0(VALU_DEP_1) | instskip(NEXT) | instid1(VALU_DEP_2)
	v_add_co_ci_u32_e64 v23, s0, v23, v1, s0
	;; [unrolled: 3-line block ×5, first 2 shown]
	v_add_co_u32 v0, s0, v28, s6
	s_delay_alu instid0(VALU_DEP_1)
	v_add_co_ci_u32_e64 v1, s0, s7, v29, s0
	s_clause 0x4
	global_store_b128 v[22:23], v[2:5], off
	global_store_b128 v[24:25], v[6:9], off
	global_store_b128 v[26:27], v[10:13], off
	global_store_b128 v[28:29], v[14:17], off
	global_store_b128 v[0:1], v[18:21], off
	s_and_b32 exec_lo, exec_lo, vcc_lo
	s_cbranch_execz .LBB0_15
; %bb.14:
	v_add_co_u32 v14, vcc_lo, 0x3000, v132
	global_load_b128 v[2:5], v[132:133], off offset:3920
	v_add_co_ci_u32_e32 v15, vcc_lo, 0, v133, vcc_lo
	s_clause 0x3
	global_load_b128 v[6:9], v[135:136], off offset:1216
	global_load_b128 v[10:13], v[137:138], off offset:4000
	;; [unrolled: 1-line block ×4, first 2 shown]
	ds_load_b128 v[22:25], v141 offset:3920
	ds_load_b128 v[26:29], v141 offset:9408
	;; [unrolled: 1-line block ×5, first 2 shown]
	s_mul_i32 s0, s5, 0xffffb990
	s_delay_alu instid0(SALU_CYCLE_1)
	s_sub_i32 s0, s0, s4
	s_waitcnt vmcnt(4) lgkmcnt(4)
	v_mul_f64 v[42:43], v[24:25], v[4:5]
	v_mul_f64 v[4:5], v[22:23], v[4:5]
	s_waitcnt vmcnt(3) lgkmcnt(3)
	v_mul_f64 v[44:45], v[28:29], v[8:9]
	v_mul_f64 v[8:9], v[26:27], v[8:9]
	;; [unrolled: 3-line block ×3, first 2 shown]
	v_mul_f64 v[46:47], v[32:33], v[12:13]
	v_mul_f64 v[12:13], v[30:31], v[12:13]
	s_waitcnt vmcnt(0) lgkmcnt(0)
	v_mul_f64 v[50:51], v[40:41], v[20:21]
	v_mul_f64 v[20:21], v[38:39], v[20:21]
	v_fma_f64 v[22:23], v[22:23], v[2:3], v[42:43]
	v_fma_f64 v[4:5], v[2:3], v[24:25], -v[4:5]
	v_fma_f64 v[24:25], v[26:27], v[6:7], v[44:45]
	v_fma_f64 v[8:9], v[6:7], v[28:29], -v[8:9]
	;; [unrolled: 2-line block ×5, first 2 shown]
	v_mul_f64 v[2:3], v[22:23], s[2:3]
	v_mul_f64 v[4:5], v[4:5], s[2:3]
	;; [unrolled: 1-line block ×10, first 2 shown]
	v_mad_u64_u32 v[22:23], null, 0xffffb990, s4, v[0:1]
	s_delay_alu instid0(VALU_DEP_1) | instskip(NEXT) | instid1(VALU_DEP_2)
	v_add_nc_u32_e32 v23, s0, v23
	v_add_co_u32 v0, vcc_lo, v22, s6
	s_delay_alu instid0(VALU_DEP_2) | instskip(NEXT) | instid1(VALU_DEP_2)
	v_add_co_ci_u32_e32 v1, vcc_lo, s7, v23, vcc_lo
	v_add_co_u32 v24, vcc_lo, v0, s6
	s_delay_alu instid0(VALU_DEP_2) | instskip(NEXT) | instid1(VALU_DEP_2)
	v_add_co_ci_u32_e32 v25, vcc_lo, s7, v1, vcc_lo
	;; [unrolled: 3-line block ×3, first 2 shown]
	v_add_co_u32 v28, vcc_lo, v26, s6
	s_delay_alu instid0(VALU_DEP_2)
	v_add_co_ci_u32_e32 v29, vcc_lo, s7, v27, vcc_lo
	global_store_b128 v[22:23], v[2:5], off
	global_store_b128 v[0:1], v[6:9], off
	;; [unrolled: 1-line block ×5, first 2 shown]
.LBB0_15:
	s_nop 0
	s_sendmsg sendmsg(MSG_DEALLOC_VGPRS)
	s_endpgm
	.section	.rodata,"a",@progbits
	.p2align	6, 0x0
	.amdhsa_kernel bluestein_single_fwd_len1715_dim1_dp_op_CI_CI
		.amdhsa_group_segment_fixed_size 27440
		.amdhsa_private_segment_fixed_size 0
		.amdhsa_kernarg_size 104
		.amdhsa_user_sgpr_count 15
		.amdhsa_user_sgpr_dispatch_ptr 0
		.amdhsa_user_sgpr_queue_ptr 0
		.amdhsa_user_sgpr_kernarg_segment_ptr 1
		.amdhsa_user_sgpr_dispatch_id 0
		.amdhsa_user_sgpr_private_segment_size 0
		.amdhsa_wavefront_size32 1
		.amdhsa_uses_dynamic_stack 0
		.amdhsa_enable_private_segment 0
		.amdhsa_system_sgpr_workgroup_id_x 1
		.amdhsa_system_sgpr_workgroup_id_y 0
		.amdhsa_system_sgpr_workgroup_id_z 0
		.amdhsa_system_sgpr_workgroup_info 0
		.amdhsa_system_vgpr_workitem_id 0
		.amdhsa_next_free_vgpr 179
		.amdhsa_next_free_sgpr 28
		.amdhsa_reserve_vcc 1
		.amdhsa_float_round_mode_32 0
		.amdhsa_float_round_mode_16_64 0
		.amdhsa_float_denorm_mode_32 3
		.amdhsa_float_denorm_mode_16_64 3
		.amdhsa_dx10_clamp 1
		.amdhsa_ieee_mode 1
		.amdhsa_fp16_overflow 0
		.amdhsa_workgroup_processor_mode 1
		.amdhsa_memory_ordered 1
		.amdhsa_forward_progress 0
		.amdhsa_shared_vgpr_count 0
		.amdhsa_exception_fp_ieee_invalid_op 0
		.amdhsa_exception_fp_denorm_src 0
		.amdhsa_exception_fp_ieee_div_zero 0
		.amdhsa_exception_fp_ieee_overflow 0
		.amdhsa_exception_fp_ieee_underflow 0
		.amdhsa_exception_fp_ieee_inexact 0
		.amdhsa_exception_int_div_zero 0
	.end_amdhsa_kernel
	.text
.Lfunc_end0:
	.size	bluestein_single_fwd_len1715_dim1_dp_op_CI_CI, .Lfunc_end0-bluestein_single_fwd_len1715_dim1_dp_op_CI_CI
                                        ; -- End function
	.section	.AMDGPU.csdata,"",@progbits
; Kernel info:
; codeLenInByte = 12292
; NumSgprs: 30
; NumVgprs: 179
; ScratchSize: 0
; MemoryBound: 0
; FloatMode: 240
; IeeeMode: 1
; LDSByteSize: 27440 bytes/workgroup (compile time only)
; SGPRBlocks: 3
; VGPRBlocks: 22
; NumSGPRsForWavesPerEU: 30
; NumVGPRsForWavesPerEU: 179
; Occupancy: 8
; WaveLimiterHint : 1
; COMPUTE_PGM_RSRC2:SCRATCH_EN: 0
; COMPUTE_PGM_RSRC2:USER_SGPR: 15
; COMPUTE_PGM_RSRC2:TRAP_HANDLER: 0
; COMPUTE_PGM_RSRC2:TGID_X_EN: 1
; COMPUTE_PGM_RSRC2:TGID_Y_EN: 0
; COMPUTE_PGM_RSRC2:TGID_Z_EN: 0
; COMPUTE_PGM_RSRC2:TIDIG_COMP_CNT: 0
	.text
	.p2alignl 7, 3214868480
	.fill 96, 4, 3214868480
	.type	__hip_cuid_c89e97e1ca2c4536,@object ; @__hip_cuid_c89e97e1ca2c4536
	.section	.bss,"aw",@nobits
	.globl	__hip_cuid_c89e97e1ca2c4536
__hip_cuid_c89e97e1ca2c4536:
	.byte	0                               ; 0x0
	.size	__hip_cuid_c89e97e1ca2c4536, 1

	.ident	"AMD clang version 19.0.0git (https://github.com/RadeonOpenCompute/llvm-project roc-6.4.0 25133 c7fe45cf4b819c5991fe208aaa96edf142730f1d)"
	.section	".note.GNU-stack","",@progbits
	.addrsig
	.addrsig_sym __hip_cuid_c89e97e1ca2c4536
	.amdgpu_metadata
---
amdhsa.kernels:
  - .args:
      - .actual_access:  read_only
        .address_space:  global
        .offset:         0
        .size:           8
        .value_kind:     global_buffer
      - .actual_access:  read_only
        .address_space:  global
        .offset:         8
        .size:           8
        .value_kind:     global_buffer
      - .actual_access:  read_only
        .address_space:  global
        .offset:         16
        .size:           8
        .value_kind:     global_buffer
      - .actual_access:  read_only
        .address_space:  global
        .offset:         24
        .size:           8
        .value_kind:     global_buffer
      - .actual_access:  read_only
        .address_space:  global
        .offset:         32
        .size:           8
        .value_kind:     global_buffer
      - .offset:         40
        .size:           8
        .value_kind:     by_value
      - .address_space:  global
        .offset:         48
        .size:           8
        .value_kind:     global_buffer
      - .address_space:  global
        .offset:         56
        .size:           8
        .value_kind:     global_buffer
      - .address_space:  global
        .offset:         64
        .size:           8
        .value_kind:     global_buffer
      - .address_space:  global
        .offset:         72
        .size:           8
        .value_kind:     global_buffer
      - .offset:         80
        .size:           4
        .value_kind:     by_value
      - .address_space:  global
        .offset:         88
        .size:           8
        .value_kind:     global_buffer
      - .address_space:  global
        .offset:         96
        .size:           8
        .value_kind:     global_buffer
    .group_segment_fixed_size: 27440
    .kernarg_segment_align: 8
    .kernarg_segment_size: 104
    .language:       OpenCL C
    .language_version:
      - 2
      - 0
    .max_flat_workgroup_size: 245
    .name:           bluestein_single_fwd_len1715_dim1_dp_op_CI_CI
    .private_segment_fixed_size: 0
    .sgpr_count:     30
    .sgpr_spill_count: 0
    .symbol:         bluestein_single_fwd_len1715_dim1_dp_op_CI_CI.kd
    .uniform_work_group_size: 1
    .uses_dynamic_stack: false
    .vgpr_count:     179
    .vgpr_spill_count: 0
    .wavefront_size: 32
    .workgroup_processor_mode: 1
amdhsa.target:   amdgcn-amd-amdhsa--gfx1100
amdhsa.version:
  - 1
  - 2
...

	.end_amdgpu_metadata
